;; amdgpu-corpus repo=zjin-lcf/HeCBench kind=compiled arch=gfx1250 opt=O3
	.amdgcn_target "amdgcn-amd-amdhsa--gfx1250"
	.amdhsa_code_object_version 6
	.text
	.protected	_Z9hypterm_1PdS_S_S_S_PKdS1_S1_S1_S1_S1_S1_S1_dddiii ; -- Begin function _Z9hypterm_1PdS_S_S_S_PKdS1_S1_S1_S1_S1_S1_S1_dddiii
	.globl	_Z9hypterm_1PdS_S_S_S_PKdS1_S1_S1_S1_S1_S1_S1_dddiii
	.p2align	8
	.type	_Z9hypterm_1PdS_S_S_S_PKdS1_S1_S1_S1_S1_S1_S1_dddiii,@function
_Z9hypterm_1PdS_S_S_S_PKdS1_S1_S1_S1_S1_S1_S1_dddiii: ; @_Z9hypterm_1PdS_S_S_S_PKdS1_S1_S1_S1_S1_S1_S1_dddiii
; %bb.0:
	s_bfe_u32 s2, ttmp6, 0x40014
	s_lshr_b32 s3, ttmp7, 16
	s_add_co_i32 s2, s2, 1
	s_bfe_u32 s4, ttmp6, 0x40008
	s_mul_i32 s2, s3, s2
	s_getreg_b32 s5, hwreg(HW_REG_IB_STS2, 6, 4)
	s_add_co_i32 s4, s4, s2
	s_cmp_eq_u32 s5, 0
	v_and_b32_e32 v1, 0x3ff, v0
	s_cselect_b32 s4, s3, s4
	s_clause 0x1
	s_load_b64 s[2:3], s[0:1], 0x9c
	s_load_b64 s[28:29], s[0:1], 0x84
	s_bfe_u32 s7, ttmp6, 0x40010
	s_and_b32 s6, ttmp7, 0xffff
	s_add_co_i32 s7, s7, 1
	s_bfe_u32 s8, ttmp6, 0x40004
	s_mul_i32 s7, s6, s7
	v_bfe_u32 v2, v0, 10, 10
	s_add_co_i32 s8, s8, s7
	s_cmp_eq_u32 s5, 0
	v_bfe_u32 v3, v0, 20, 10
	s_cselect_b32 s6, s6, s8
	s_bfe_u32 s7, ttmp6, 0x4000c
	s_and_b32 s8, ttmp6, 15
	s_add_co_i32 s7, s7, 1
	s_delay_alu instid0(SALU_CYCLE_1) | instskip(NEXT) | instid1(SALU_CYCLE_1)
	s_mul_i32 s7, ttmp9, s7
	s_add_co_i32 s8, s8, s7
	s_cmp_eq_u32 s5, 0
	s_cselect_b32 s5, ttmp9, s8
	s_wait_kmcnt 0x0
	s_and_b32 s7, s2, 0xffff
	s_and_b32 s3, s3, 0xffff
	s_lshr_b32 s2, s2, 16
	s_mul_i32 s5, s5, s7
	s_mul_i32 s6, s6, s2
	;; [unrolled: 1-line block ×3, first 2 shown]
	s_max_i32 s5, s5, 0
	s_max_i32 s2, s6, 0
	;; [unrolled: 1-line block ×3, first 2 shown]
	v_dual_add_nc_u32 v1, s5, v1 :: v_dual_add_nc_u32 v0, s2, v2
	v_add_nc_u32_e32 v2, s3, v3
	s_add_co_i32 s2, s29, -5
	s_delay_alu instid0(VALU_DEP_1) | instskip(SKIP_1) | instid1(VALU_DEP_2)
	v_min3_u32 v3, v1, v0, v2
	v_max3_i32 v4, v1, v0, v2
	v_cmp_lt_u32_e32 vcc_lo, 3, v3
	s_delay_alu instid0(VALU_DEP_2) | instskip(SKIP_1) | instid1(SALU_CYCLE_1)
	v_cmp_ge_i32_e64 s2, s2, v4
	s_and_b32 s2, s2, vcc_lo
	s_and_saveexec_b32 s3, s2
	s_cbranch_execz .LBB0_2
; %bb.1:
	v_mad_u32 v0, v2, s28, v0
	s_clause 0x3
	s_load_b256 s[12:19], s[0:1], 0x0
	s_load_b256 s[4:11], s[0:1], 0x20
	s_load_b128 s[24:27], s[0:1], 0x40
	s_load_b128 s[20:23], s[0:1], 0x60
	s_wait_xcnt 0x0
	s_mov_b64 s[0:1], 0x3fe99999a0000000
	s_delay_alu instid0(VALU_DEP_1) | instskip(NEXT) | instid1(VALU_DEP_1)
	v_mad_u32 v32, v0, s29, v1
	v_ashrrev_i32_e32 v33, 31, v32
	s_delay_alu instid0(VALU_DEP_1) | instskip(SKIP_1) | instid1(VALU_DEP_1)
	v_lshlrev_b64_e32 v[34:35], 3, v[32:33]
	s_wait_kmcnt 0x0
	v_add_nc_u64_e32 v[0:1], s[6:7], v[34:35]
	v_add_nc_u64_e32 v[8:9], s[26:27], v[34:35]
	;; [unrolled: 1-line block ×3, first 2 shown]
	s_clause 0x3
	global_load_b128 v[36:39], v[0:1], off offset:24
	global_load_b128 v[40:43], v[0:1], off offset:8
	global_load_b128 v[44:47], v[0:1], off offset:-16
	global_load_b128 v[48:51], v[0:1], off offset:-32
	s_wait_loadcnt 0x1
	v_add_f64_e64 v[2:3], v[42:43], -v[44:45]
	s_wait_xcnt 0x0
	v_add_f64_e64 v[0:1], v[40:41], -v[46:47]
	s_delay_alu instid0(VALU_DEP_2) | instskip(NEXT) | instid1(VALU_DEP_1)
	v_mul_f64_e32 v[2:3], 0x3fc99999a0000000, v[2:3]
	v_fma_f64 v[0:1], v[0:1], s[0:1], -v[2:3]
	s_wait_loadcnt 0x0
	v_add_f64_e64 v[2:3], v[36:37], -v[50:51]
	s_delay_alu instid0(VALU_DEP_1) | instskip(SKIP_1) | instid1(VALU_DEP_1)
	v_fmac_f64_e32 v[0:1], 0x3fa374bc60000000, v[2:3]
	v_add_f64_e64 v[2:3], v[38:39], -v[48:49]
	v_fmac_f64_e32 v[0:1], 0xbf6cac0840000000, v[2:3]
	s_delay_alu instid0(VALU_DEP_1)
	v_mul_f64_e64 v[0:1], v[0:1], -s[22:23]
	global_store_b64 v32, v[0:1], s[12:13] scale_offset
	s_clause 0x3
	global_load_b128 v[0:3], v[8:9], off offset:24
	global_load_b128 v[16:19], v[8:9], off offset:8
	global_load_b128 v[20:23], v[8:9], off offset:-16
	global_load_b128 v[4:7], v[8:9], off offset:-32
	s_wait_loadcnt 0x1
	s_wait_xcnt 0x0
	v_mul_f64_e32 v[8:9], v[46:47], v[22:23]
	v_add_nc_u64_e32 v[46:47], s[20:21], v[34:35]
	v_mul_f64_e32 v[44:45], v[44:45], v[20:21]
	s_delay_alu instid0(VALU_DEP_3)
	v_fma_f64 v[40:41], v[40:41], v[16:17], -v[8:9]
	s_clause 0x3
	global_load_b128 v[8:11], v[46:47], off offset:24
	global_load_b128 v[24:27], v[46:47], off offset:8
	global_load_b128 v[28:31], v[46:47], off offset:-16
	global_load_b128 v[12:15], v[46:47], off offset:-32
	v_fma_f64 v[42:43], v[42:43], v[18:19], -v[44:45]
	s_wait_loadcnt 0x1
	v_add_f64_e64 v[44:45], v[26:27], -v[28:29]
	s_wait_xcnt 0x0
	v_add_f64_e64 v[46:47], v[24:25], -v[30:31]
	s_delay_alu instid0(VALU_DEP_2) | instskip(NEXT) | instid1(VALU_DEP_2)
	v_add_f64_e32 v[42:43], v[42:43], v[44:45]
	v_add_f64_e32 v[40:41], v[40:41], v[46:47]
	s_delay_alu instid0(VALU_DEP_2) | instskip(NEXT) | instid1(VALU_DEP_1)
	v_mul_f64_e32 v[42:43], 0x3fc99999a0000000, v[42:43]
	v_fma_f64 v[40:41], v[40:41], s[0:1], -v[42:43]
	v_mul_f64_e32 v[42:43], v[50:51], v[6:7]
	s_delay_alu instid0(VALU_DEP_1) | instskip(SKIP_2) | instid1(VALU_DEP_1)
	v_fma_f64 v[36:37], v[36:37], v[0:1], -v[42:43]
	s_wait_loadcnt 0x0
	v_add_f64_e64 v[42:43], v[8:9], -v[14:15]
	v_add_f64_e32 v[36:37], v[36:37], v[42:43]
	s_delay_alu instid0(VALU_DEP_1) | instskip(SKIP_1) | instid1(VALU_DEP_1)
	v_fmac_f64_e32 v[40:41], 0x3fa374bc60000000, v[36:37]
	v_mul_f64_e32 v[36:37], v[48:49], v[4:5]
	v_fma_f64 v[36:37], v[38:39], v[2:3], -v[36:37]
	v_add_f64_e64 v[38:39], v[10:11], -v[12:13]
	s_delay_alu instid0(VALU_DEP_1) | instskip(NEXT) | instid1(VALU_DEP_1)
	v_add_f64_e32 v[36:37], v[36:37], v[38:39]
	v_fmac_f64_e32 v[40:41], 0xbf6cac0840000000, v[36:37]
	s_delay_alu instid0(VALU_DEP_1)
	v_mul_f64_e64 v[36:37], v[40:41], -s[22:23]
	global_store_b64 v32, v[36:37], s[14:15] scale_offset
	s_clause 0x3
	global_load_b128 v[36:39], v[52:53], off offset:24
	global_load_b128 v[40:43], v[52:53], off offset:8
	global_load_b128 v[44:47], v[52:53], off offset:-16
	global_load_b128 v[48:51], v[52:53], off offset:-32
	s_wait_xcnt 0x0
	v_add_nc_u64_e32 v[52:53], s[10:11], v[34:35]
	s_wait_loadcnt 0x1
	v_mul_f64_e32 v[44:45], v[20:21], v[44:45]
	v_mul_f64_e32 v[46:47], v[22:23], v[46:47]
	s_delay_alu instid0(VALU_DEP_2) | instskip(NEXT) | instid1(VALU_DEP_2)
	v_fma_f64 v[42:43], v[18:19], v[42:43], -v[44:45]
	v_fma_f64 v[40:41], v[16:17], v[40:41], -v[46:47]
	s_delay_alu instid0(VALU_DEP_2) | instskip(NEXT) | instid1(VALU_DEP_1)
	v_mul_f64_e32 v[42:43], 0x3fc99999a0000000, v[42:43]
	v_fma_f64 v[40:41], v[40:41], s[0:1], -v[42:43]
	s_wait_loadcnt 0x0
	v_mul_f64_e32 v[42:43], v[6:7], v[50:51]
	s_delay_alu instid0(VALU_DEP_1) | instskip(NEXT) | instid1(VALU_DEP_1)
	v_fma_f64 v[36:37], v[0:1], v[36:37], -v[42:43]
	v_fmac_f64_e32 v[40:41], 0x3fa374bc60000000, v[36:37]
	v_mul_f64_e32 v[36:37], v[4:5], v[48:49]
	s_delay_alu instid0(VALU_DEP_1) | instskip(NEXT) | instid1(VALU_DEP_1)
	v_fma_f64 v[36:37], v[2:3], v[38:39], -v[36:37]
	v_fmac_f64_e32 v[40:41], 0xbf6cac0840000000, v[36:37]
	s_delay_alu instid0(VALU_DEP_1)
	v_mul_f64_e64 v[36:37], v[40:41], -s[22:23]
	global_store_b64 v32, v[36:37], s[16:17] scale_offset
	s_clause 0x3
	global_load_b128 v[36:39], v[52:53], off offset:24
	global_load_b128 v[40:43], v[52:53], off offset:8
	global_load_b128 v[44:47], v[52:53], off offset:-16
	global_load_b128 v[48:51], v[52:53], off offset:-32
	s_wait_loadcnt 0x1
	v_mul_f64_e32 v[44:45], v[20:21], v[44:45]
	v_mul_f64_e32 v[46:47], v[22:23], v[46:47]
	s_delay_alu instid0(VALU_DEP_2) | instskip(NEXT) | instid1(VALU_DEP_2)
	v_fma_f64 v[42:43], v[18:19], v[42:43], -v[44:45]
	v_fma_f64 v[40:41], v[16:17], v[40:41], -v[46:47]
	s_delay_alu instid0(VALU_DEP_2) | instskip(NEXT) | instid1(VALU_DEP_1)
	v_mul_f64_e32 v[42:43], 0x3fc99999a0000000, v[42:43]
	v_fma_f64 v[40:41], v[40:41], s[0:1], -v[42:43]
	s_wait_loadcnt 0x0
	v_mul_f64_e32 v[42:43], v[6:7], v[50:51]
	v_add_nc_u64_e32 v[50:51], s[24:25], v[34:35]
	s_delay_alu instid0(VALU_DEP_2) | instskip(NEXT) | instid1(VALU_DEP_1)
	v_fma_f64 v[36:37], v[0:1], v[36:37], -v[42:43]
	v_fmac_f64_e32 v[40:41], 0x3fa374bc60000000, v[36:37]
	v_mul_f64_e32 v[36:37], v[4:5], v[48:49]
	s_delay_alu instid0(VALU_DEP_1) | instskip(NEXT) | instid1(VALU_DEP_1)
	v_fma_f64 v[36:37], v[2:3], v[38:39], -v[36:37]
	v_fmac_f64_e32 v[40:41], 0xbf6cac0840000000, v[36:37]
	s_delay_alu instid0(VALU_DEP_1)
	v_mul_f64_e64 v[36:37], v[40:41], -s[22:23]
	global_store_b64 v32, v[36:37], s[18:19] scale_offset
	s_clause 0x3
	global_load_b128 v[34:37], v[50:51], off offset:24
	global_load_b128 v[38:41], v[50:51], off offset:8
	global_load_b128 v[42:45], v[50:51], off offset:-16
	global_load_b128 v[46:49], v[50:51], off offset:-32
	s_wait_loadcnt 0x1
	v_mul_f64_e32 v[44:45], v[22:23], v[44:45]
	v_mul_f64_e32 v[22:23], v[22:23], v[30:31]
	s_delay_alu instid0(VALU_DEP_2) | instskip(NEXT) | instid1(VALU_DEP_2)
	v_fma_f64 v[38:39], v[16:17], v[38:39], -v[44:45]
	v_fma_f64 v[16:17], v[16:17], v[24:25], -v[22:23]
	v_mul_f64_e32 v[22:23], v[20:21], v[42:43]
	v_mul_f64_e32 v[20:21], v[20:21], v[28:29]
	s_delay_alu instid0(VALU_DEP_3) | instskip(NEXT) | instid1(VALU_DEP_3)
	v_add_f64_e32 v[16:17], v[16:17], v[38:39]
	v_fma_f64 v[22:23], v[18:19], v[40:41], -v[22:23]
	s_delay_alu instid0(VALU_DEP_3) | instskip(NEXT) | instid1(VALU_DEP_1)
	v_fma_f64 v[18:19], v[18:19], v[26:27], -v[20:21]
	v_add_f64_e32 v[18:19], v[18:19], v[22:23]
	s_delay_alu instid0(VALU_DEP_1) | instskip(NEXT) | instid1(VALU_DEP_1)
	v_mul_f64_e32 v[18:19], 0x3fc99999a0000000, v[18:19]
	v_fma_f64 v[16:17], v[16:17], s[0:1], -v[18:19]
	s_wait_loadcnt 0x0
	v_mul_f64_e32 v[18:19], v[6:7], v[48:49]
	v_mul_f64_e32 v[6:7], v[6:7], v[14:15]
	s_delay_alu instid0(VALU_DEP_2) | instskip(NEXT) | instid1(VALU_DEP_2)
	v_fma_f64 v[18:19], v[0:1], v[34:35], -v[18:19]
	v_fma_f64 v[0:1], v[0:1], v[8:9], -v[6:7]
	s_delay_alu instid0(VALU_DEP_1) | instskip(NEXT) | instid1(VALU_DEP_1)
	v_add_f64_e32 v[0:1], v[0:1], v[18:19]
	v_fmac_f64_e32 v[16:17], 0x3fa374bc60000000, v[0:1]
	v_mul_f64_e32 v[0:1], v[4:5], v[46:47]
	v_mul_f64_e32 v[4:5], v[4:5], v[12:13]
	s_delay_alu instid0(VALU_DEP_2) | instskip(NEXT) | instid1(VALU_DEP_2)
	v_fma_f64 v[0:1], v[2:3], v[36:37], -v[0:1]
	v_fma_f64 v[2:3], v[2:3], v[10:11], -v[4:5]
	s_delay_alu instid0(VALU_DEP_1) | instskip(NEXT) | instid1(VALU_DEP_1)
	v_add_f64_e32 v[0:1], v[2:3], v[0:1]
	v_fmac_f64_e32 v[16:17], 0xbf6cac0840000000, v[0:1]
	s_delay_alu instid0(VALU_DEP_1)
	v_mul_f64_e64 v[0:1], v[16:17], -s[22:23]
	global_store_b64 v32, v[0:1], s[4:5] scale_offset
.LBB0_2:
	s_endpgm
	.section	.rodata,"a",@progbits
	.p2align	6, 0x0
	.amdhsa_kernel _Z9hypterm_1PdS_S_S_S_PKdS1_S1_S1_S1_S1_S1_S1_dddiii
		.amdhsa_group_segment_fixed_size 0
		.amdhsa_private_segment_fixed_size 0
		.amdhsa_kernarg_size 400
		.amdhsa_user_sgpr_count 2
		.amdhsa_user_sgpr_dispatch_ptr 0
		.amdhsa_user_sgpr_queue_ptr 0
		.amdhsa_user_sgpr_kernarg_segment_ptr 1
		.amdhsa_user_sgpr_dispatch_id 0
		.amdhsa_user_sgpr_kernarg_preload_length 0
		.amdhsa_user_sgpr_kernarg_preload_offset 0
		.amdhsa_user_sgpr_private_segment_size 0
		.amdhsa_wavefront_size32 1
		.amdhsa_uses_dynamic_stack 0
		.amdhsa_enable_private_segment 0
		.amdhsa_system_sgpr_workgroup_id_x 1
		.amdhsa_system_sgpr_workgroup_id_y 1
		.amdhsa_system_sgpr_workgroup_id_z 1
		.amdhsa_system_sgpr_workgroup_info 0
		.amdhsa_system_vgpr_workitem_id 2
		.amdhsa_next_free_vgpr 54
		.amdhsa_next_free_sgpr 30
		.amdhsa_named_barrier_count 0
		.amdhsa_reserve_vcc 1
		.amdhsa_float_round_mode_32 0
		.amdhsa_float_round_mode_16_64 0
		.amdhsa_float_denorm_mode_32 3
		.amdhsa_float_denorm_mode_16_64 3
		.amdhsa_fp16_overflow 0
		.amdhsa_memory_ordered 1
		.amdhsa_forward_progress 1
		.amdhsa_inst_pref_size 13
		.amdhsa_round_robin_scheduling 0
		.amdhsa_exception_fp_ieee_invalid_op 0
		.amdhsa_exception_fp_denorm_src 0
		.amdhsa_exception_fp_ieee_div_zero 0
		.amdhsa_exception_fp_ieee_overflow 0
		.amdhsa_exception_fp_ieee_underflow 0
		.amdhsa_exception_fp_ieee_inexact 0
		.amdhsa_exception_int_div_zero 0
	.end_amdhsa_kernel
	.text
.Lfunc_end0:
	.size	_Z9hypterm_1PdS_S_S_S_PKdS1_S1_S1_S1_S1_S1_S1_dddiii, .Lfunc_end0-_Z9hypterm_1PdS_S_S_S_PKdS1_S1_S1_S1_S1_S1_S1_dddiii
                                        ; -- End function
	.set _Z9hypterm_1PdS_S_S_S_PKdS1_S1_S1_S1_S1_S1_S1_dddiii.num_vgpr, 54
	.set _Z9hypterm_1PdS_S_S_S_PKdS1_S1_S1_S1_S1_S1_S1_dddiii.num_agpr, 0
	.set _Z9hypterm_1PdS_S_S_S_PKdS1_S1_S1_S1_S1_S1_S1_dddiii.numbered_sgpr, 30
	.set _Z9hypterm_1PdS_S_S_S_PKdS1_S1_S1_S1_S1_S1_S1_dddiii.num_named_barrier, 0
	.set _Z9hypterm_1PdS_S_S_S_PKdS1_S1_S1_S1_S1_S1_S1_dddiii.private_seg_size, 0
	.set _Z9hypterm_1PdS_S_S_S_PKdS1_S1_S1_S1_S1_S1_S1_dddiii.uses_vcc, 1
	.set _Z9hypterm_1PdS_S_S_S_PKdS1_S1_S1_S1_S1_S1_S1_dddiii.uses_flat_scratch, 0
	.set _Z9hypterm_1PdS_S_S_S_PKdS1_S1_S1_S1_S1_S1_S1_dddiii.has_dyn_sized_stack, 0
	.set _Z9hypterm_1PdS_S_S_S_PKdS1_S1_S1_S1_S1_S1_S1_dddiii.has_recursion, 0
	.set _Z9hypterm_1PdS_S_S_S_PKdS1_S1_S1_S1_S1_S1_S1_dddiii.has_indirect_call, 0
	.section	.AMDGPU.csdata,"",@progbits
; Kernel info:
; codeLenInByte = 1544
; TotalNumSgprs: 32
; NumVgprs: 54
; ScratchSize: 0
; MemoryBound: 0
; FloatMode: 240
; IeeeMode: 1
; LDSByteSize: 0 bytes/workgroup (compile time only)
; SGPRBlocks: 0
; VGPRBlocks: 3
; NumSGPRsForWavesPerEU: 32
; NumVGPRsForWavesPerEU: 54
; NamedBarCnt: 0
; Occupancy: 16
; WaveLimiterHint : 0
; COMPUTE_PGM_RSRC2:SCRATCH_EN: 0
; COMPUTE_PGM_RSRC2:USER_SGPR: 2
; COMPUTE_PGM_RSRC2:TRAP_HANDLER: 0
; COMPUTE_PGM_RSRC2:TGID_X_EN: 1
; COMPUTE_PGM_RSRC2:TGID_Y_EN: 1
; COMPUTE_PGM_RSRC2:TGID_Z_EN: 1
; COMPUTE_PGM_RSRC2:TIDIG_COMP_CNT: 2
	.text
	.protected	_Z9hypterm_2PdS_S_S_S_PKdS1_S1_S1_S1_S1_S1_S1_dddiii ; -- Begin function _Z9hypterm_2PdS_S_S_S_PKdS1_S1_S1_S1_S1_S1_S1_dddiii
	.globl	_Z9hypterm_2PdS_S_S_S_PKdS1_S1_S1_S1_S1_S1_S1_dddiii
	.p2align	8
	.type	_Z9hypterm_2PdS_S_S_S_PKdS1_S1_S1_S1_S1_S1_S1_dddiii,@function
_Z9hypterm_2PdS_S_S_S_PKdS1_S1_S1_S1_S1_S1_S1_dddiii: ; @_Z9hypterm_2PdS_S_S_S_PKdS1_S1_S1_S1_S1_S1_S1_dddiii
; %bb.0:
	s_bfe_u32 s2, ttmp6, 0x40014
	s_lshr_b32 s3, ttmp7, 16
	s_add_co_i32 s2, s2, 1
	s_bfe_u32 s4, ttmp6, 0x40008
	s_mul_i32 s2, s3, s2
	s_getreg_b32 s5, hwreg(HW_REG_IB_STS2, 6, 4)
	s_add_co_i32 s4, s4, s2
	s_cmp_eq_u32 s5, 0
	v_and_b32_e32 v1, 0x3ff, v0
	s_cselect_b32 s4, s3, s4
	s_clause 0x1
	s_load_b64 s[2:3], s[0:1], 0x9c
	s_load_b64 s[20:21], s[0:1], 0x84
	s_bfe_u32 s7, ttmp6, 0x40010
	s_and_b32 s6, ttmp7, 0xffff
	s_add_co_i32 s7, s7, 1
	s_bfe_u32 s8, ttmp6, 0x40004
	s_mul_i32 s7, s6, s7
	s_delay_alu instid0(SALU_CYCLE_1)
	s_add_co_i32 s8, s8, s7
	s_cmp_eq_u32 s5, 0
	s_cselect_b32 s6, s6, s8
	s_bfe_u32 s7, ttmp6, 0x4000c
	s_and_b32 s8, ttmp6, 15
	s_add_co_i32 s7, s7, 1
	s_delay_alu instid0(SALU_CYCLE_1) | instskip(NEXT) | instid1(SALU_CYCLE_1)
	s_mul_i32 s7, ttmp9, s7
	s_add_co_i32 s8, s8, s7
	s_cmp_eq_u32 s5, 0
	s_cselect_b32 s5, ttmp9, s8
	s_wait_kmcnt 0x0
	s_and_b32 s7, s2, 0xffff
	s_lshr_b32 s2, s2, 16
	s_mul_i32 s5, s5, s7
	s_mul_i32 s6, s6, s2
	s_max_i32 s5, s5, 0
	s_and_b32 s3, s3, 0xffff
	s_max_i32 s2, s6, 0
	v_add_nc_u32_e32 v12, s5, v1
	v_bfe_u32 v1, v0, 10, 10
	v_bfe_u32 v0, v0, 20, 10
	s_mul_i32 s4, s4, s3
	s_delay_alu instid0(SALU_CYCLE_1)
	s_max_i32 s3, s4, 0
	s_delay_alu instid0(VALU_DEP_1) | instid1(SALU_CYCLE_1)
	v_dual_add_nc_u32 v13, s2, v1 :: v_dual_add_nc_u32 v0, s3, v0
	s_add_co_i32 s2, s21, -5
	s_delay_alu instid0(VALU_DEP_1) | instskip(SKIP_1) | instid1(VALU_DEP_2)
	v_min3_u32 v1, v12, v13, v0
	v_max3_i32 v2, v12, v13, v0
	v_cmp_lt_u32_e32 vcc_lo, 3, v1
	s_delay_alu instid0(VALU_DEP_2) | instskip(SKIP_1) | instid1(SALU_CYCLE_1)
	v_cmp_ge_i32_e64 s2, s2, v2
	s_and_b32 s2, s2, vcc_lo
	s_and_saveexec_b32 s3, s2
	s_cbranch_execz .LBB1_2
; %bb.1:
	v_mul_lo_u32 v10, v0, s20
	s_clause 0x1
	s_load_b256 s[4:11], s[0:1], 0x20
	s_load_b128 s[12:15], s[0:1], 0x50
	s_lshl_b32 s24, s20, 1
	s_load_b64 s[22:23], s[0:1], 0x40
	s_delay_alu instid0(VALU_DEP_1) | instskip(NEXT) | instid1(VALU_DEP_1)
	v_add_nc_u32_e32 v15, v10, v13
	v_mad_u32 v14, v15, s21, v12
	s_delay_alu instid0(VALU_DEP_1) | instskip(SKIP_2) | instid1(VALU_DEP_3)
	v_dual_add_nc_u32 v26, s21, v14 :: v_dual_add_nc_u32 v0, -1, v15
	v_dual_add_nc_u32 v58, s20, v10 :: v_dual_add_nc_u32 v10, 2, v15
	v_add_nc_u32_e32 v61, 3, v15
	v_mad_u32 v11, v0, s21, v12
	s_wait_kmcnt 0x0
	s_clause 0x3
	global_load_b64 v[2:3], v11, s[6:7] scale_offset
	global_load_b64 v[0:1], v11, s[12:13] scale_offset
	;; [unrolled: 1-line block ×4, first 2 shown]
	s_clause 0x3
	global_load_b64 v[8:9], v26, s[6:7] scale_offset
	global_load_b64 v[16:17], v26, s[12:13] scale_offset
	;; [unrolled: 1-line block ×4, first 2 shown]
	s_clause 0x1
	s_load_b64 s[2:3], s[0:1], 0x60
	s_load_b128 s[16:19], s[0:1], 0x70
	s_wait_kmcnt 0x0
	s_clause 0x1
	global_load_b64 v[22:23], v26, s[2:3] scale_offset
	global_load_b64 v[24:25], v11, s[2:3] scale_offset
	s_wait_xcnt 0x0
	v_add_nc_u32_e32 v11, -2, v15
	v_subrev_nc_u32_e32 v60, s24, v58
	v_mad_u32 v10, v10, s21, v12
	s_lshl_b32 s24, s20, 2
	v_add_nc_u32_e32 v58, v58, v13
	v_mad_u32 v11, v11, s21, v12
	s_clause 0x1
	global_load_b64 v[26:27], v11, s[6:7] scale_offset
	global_load_b64 v[28:29], v11, s[12:13] scale_offset
	v_add_nc_u32_e32 v34, v60, v13
	s_clause 0x1
	global_load_b64 v[30:31], v11, s[10:11] scale_offset
	global_load_b64 v[32:33], v11, s[8:9] scale_offset
	v_mad_u32 v61, v61, s21, v12
	v_mad_u32 v52, v34, s21, v12
	s_clause 0x1
	global_load_b64 v[34:35], v10, s[2:3] scale_offset
	global_load_b64 v[36:37], v11, s[2:3] scale_offset
	s_clause 0x2
	global_load_b64 v[38:39], v52, s[22:23] scale_offset
	global_load_b64 v[40:41], v52, s[14:15] scale_offset
	;; [unrolled: 1-line block ×3, first 2 shown]
	s_clause 0x3
	global_load_b64 v[44:45], v10, s[6:7] scale_offset
	global_load_b64 v[46:47], v10, s[12:13] scale_offset
	;; [unrolled: 1-line block ×4, first 2 shown]
	s_wait_xcnt 0x0
	v_add_nc_u32_e32 v10, -3, v15
	s_delay_alu instid0(VALU_DEP_1)
	v_mad_u32 v59, v10, s21, v12
	s_clause 0x2
	global_load_b64 v[52:53], v59, s[6:7] scale_offset
	global_load_b64 v[54:55], v59, s[12:13] scale_offset
	;; [unrolled: 1-line block ×3, first 2 shown]
	s_wait_loadcnt 0x18
	v_mul_f64_e32 v[2:3], v[2:3], v[0:1]
	s_wait_loadcnt 0x17
	v_mul_f64_e32 v[10:11], v[4:5], v[0:1]
	;; [unrolled: 2-line block ×3, first 2 shown]
	s_wait_loadcnt 0x10
	v_add_f64_e64 v[22:23], v[22:23], -v[24:25]
	s_delay_alu instid0(VALU_DEP_4)
	v_fma_f64 v[0:1], v[8:9], v[16:17], -v[2:3]
	global_load_b64 v[8:9], v59, s[10:11] scale_offset
	v_fma_f64 v[10:11], v[18:19], v[16:17], -v[10:11]
	v_fma_f64 v[2:3], v[16:17], v[20:21], -v[6:7]
	s_clause 0x3
	global_load_b64 v[6:7], v61, s[6:7] scale_offset
	global_load_b64 v[16:17], v61, s[12:13] scale_offset
	;; [unrolled: 1-line block ×4, first 2 shown]
	v_add_f64_e64 v[18:19], v[18:19], -v[4:5]
	s_wait_loadcnt 0x13
	v_mul_f64_e32 v[4:5], v[26:27], v[28:29]
	s_wait_loadcnt 0x12
	v_mul_f64_e32 v[26:27], v[28:29], v[30:31]
	;; [unrolled: 2-line block ×3, first 2 shown]
	s_wait_loadcnt 0xf
	v_dual_add_f64 v[30:31], v[34:35], -v[36:37] :: v_dual_add_nc_u32 v34, 4, v15
	s_wait_loadcnt 0xd
	v_mul_f64_e32 v[36:37], v[38:39], v[40:41]
	s_wait_loadcnt 0xc
	v_mul_f64_e32 v[38:39], v[40:41], v[42:43]
	v_add_nc_u32_e32 v15, -4, v15
	global_load_b64 v[40:41], v59, s[2:3] scale_offset
	v_mad_u32 v62, v34, s21, v12
	global_load_b64 v[34:35], v61, s[2:3] scale_offset
	s_wait_xcnt 0x0
	v_mad_u32 v61, v58, s21, v12
	v_mad_u32 v15, v15, s21, v12
	s_wait_loadcnt 0xb
	v_add_f64_e64 v[32:33], v[48:49], -v[32:33]
	v_add_f64_e32 v[10:11], v[10:11], v[22:23]
	v_fma_f64 v[42:43], v[44:45], v[46:47], -v[4:5]
	s_wait_loadcnt 0x8
	v_mul_f64_e32 v[4:5], v[52:53], v[54:55]
	s_wait_loadcnt 0x7
	v_mul_f64_e32 v[52:53], v[56:57], v[54:55]
	global_load_b64 v[44:45], v62, s[2:3] scale_offset
	v_fma_f64 v[28:29], v[48:49], v[46:47], -v[28:29]
	global_load_b64 v[48:49], v15, s[2:3] scale_offset
	v_mul_f64_e32 v[32:33], 0x3fc99999a0000000, v[32:33]
	v_add_f64_e32 v[22:23], v[28:29], v[30:31]
	s_delay_alu instid0(VALU_DEP_1)
	v_mul_f64_e32 v[22:23], 0x3fc99999a0000000, v[22:23]
	s_wait_loadcnt 0x8
	v_mul_f64_e32 v[8:9], v[54:55], v[8:9]
	v_mad_u32 v54, s20, 3, v60
	s_wait_loadcnt 0x6
	v_fma_f64 v[4:5], v[6:7], v[16:17], -v[4:5]
	s_delay_alu instid0(VALU_DEP_2) | instskip(NEXT) | instid1(VALU_DEP_1)
	v_subrev_nc_u32_e32 v55, s24, v54
	v_add_nc_u32_e32 v6, v55, v13
	s_wait_loadcnt 0x2
	v_add_f64_e64 v[34:35], v[34:35], -v[40:41]
	s_delay_alu instid0(VALU_DEP_2)
	v_mad_u32 v60, v6, s21, v12
	v_add_f64_e64 v[6:7], v[20:21], -v[56:57]
	v_mad_u32 v56, s20, 5, v55
	v_fma_f64 v[20:21], v[20:21], v[16:17], -v[52:53]
	v_add_nc_u32_e32 v41, v54, v13
	v_fma_f64 v[8:9], v[16:17], v[24:25], -v[8:9]
	s_delay_alu instid0(VALU_DEP_4)
	v_mad_u32 v57, s20, -6, v56
	v_fma_f64 v[26:27], v[46:47], v[50:51], -v[26:27]
	s_clause 0x2
	global_load_b64 v[46:47], v61, s[22:23] scale_offset
	global_load_b64 v[50:51], v61, s[14:15] scale_offset
	;; [unrolled: 1-line block ×3, first 2 shown]
	s_clause 0x2
	global_load_b64 v[16:17], v60, s[22:23] scale_offset
	global_load_b64 v[24:25], v60, s[14:15] scale_offset
	;; [unrolled: 1-line block ×3, first 2 shown]
	s_wait_xcnt 0x0
	v_mad_u32 v60, v41, s21, v12
	v_add_nc_u32_e32 v40, v57, v13
	v_mad_u32 v57, s20, 7, v57
	s_lshl_b32 s20, s20, 3
	s_delay_alu instid0(VALU_DEP_2)
	v_mad_u32 v54, v40, s21, v12
	s_wait_loadcnt 0x6
	v_add_f64_e64 v[40:41], v[44:45], -v[48:49]
	v_add_f64_e32 v[20:21], v[20:21], v[34:35]
	v_mul_f64_e32 v[26:27], 0x3fc99999a0000000, v[26:27]
	s_wait_loadcnt 0x4
	v_fma_f64 v[36:37], v[46:47], v[50:51], -v[36:37]
	s_clause 0x2
	global_load_b64 v[44:45], v54, s[22:23] scale_offset
	global_load_b64 v[46:47], v54, s[14:15] scale_offset
	;; [unrolled: 1-line block ×3, first 2 shown]
	s_wait_loadcnt 0x6
	v_fma_f64 v[38:39], v[50:51], v[58:59], -v[38:39]
	s_clause 0x1
	global_load_b64 v[50:51], v60, s[22:23] scale_offset
	global_load_b64 v[54:55], v60, s[14:15] scale_offset
	s_wait_loadcnt 0x6
	v_mul_f64_e32 v[16:17], v[16:17], v[24:25]
	s_wait_loadcnt 0x5
	v_mul_f64_e32 v[24:25], v[24:25], v[52:53]
	global_load_b64 v[52:53], v60, s[2:3] scale_offset
	v_subrev_nc_u32_e32 v58, s20, v57
	s_delay_alu instid0(VALU_DEP_1) | instskip(SKIP_2) | instid1(VALU_DEP_3)
	v_dual_add_nc_u32 v59, v56, v13 :: v_dual_add_nc_u32 v58, v58, v13
	v_add_nc_u32_e32 v13, v57, v13
	v_mul_f64_e32 v[42:43], 0x3fc99999a0000000, v[42:43]
	v_mad_u32 v58, v58, s21, v12
	s_wait_xcnt 0x0
	s_delay_alu instid0(VALU_DEP_3)
	v_mad_u32 v60, v13, s21, v12
	v_add_f64_e32 v[36:37], v[36:37], v[38:39]
	s_wait_loadcnt 0x4
	v_mul_f64_e32 v[44:45], v[44:45], v[46:47]
	s_wait_loadcnt 0x3
	v_mul_f64_e32 v[46:47], v[46:47], v[48:49]
	s_wait_loadcnt 0x1
	v_fma_f64 v[16:17], v[50:51], v[54:55], -v[16:17]
	s_clause 0x2
	global_load_b64 v[48:49], v58, s[22:23] scale_offset
	global_load_b64 v[50:51], v58, s[14:15] scale_offset
	;; [unrolled: 1-line block ×3, first 2 shown]
	s_wait_xcnt 0x0
	v_mad_u32 v58, v59, s21, v12
	s_wait_loadcnt 0x3
	v_fma_f64 v[12:13], v[54:55], v[52:53], -v[24:25]
	s_clause 0x2
	global_load_b64 v[24:25], v58, s[22:23] scale_offset
	global_load_b64 v[52:53], v58, s[14:15] scale_offset
	;; [unrolled: 1-line block ×3, first 2 shown]
	s_mov_b64 s[20:21], 0x3fe99999a0000000
	s_delay_alu instid0(SALU_CYCLE_1)
	v_fma_f64 v[18:19], v[18:19], s[20:21], -v[32:33]
	v_fma_f64 v[0:1], v[0:1], s[20:21], -v[42:43]
	;; [unrolled: 1-line block ×4, first 2 shown]
	v_add_f64_e32 v[12:13], v[16:17], v[12:13]
	v_fmac_f64_e32 v[18:19], 0x3fa374bc60000000, v[6:7]
	v_fmac_f64_e32 v[0:1], 0x3fa374bc60000000, v[4:5]
	;; [unrolled: 1-line block ×4, first 2 shown]
	v_mul_f64_e32 v[12:13], 0x3fc99999a0000000, v[12:13]
	s_delay_alu instid0(VALU_DEP_1)
	v_fma_f64 v[12:13], v[36:37], s[20:21], -v[12:13]
	s_wait_loadcnt 0x4
	v_mul_f64_e32 v[48:49], v[48:49], v[50:51]
	s_wait_loadcnt 0x3
	v_mul_f64_e32 v[50:51], v[50:51], v[56:57]
	s_clause 0x1
	global_load_b64 v[32:33], v60, s[22:23] scale_offset
	global_load_b64 v[56:57], v60, s[14:15] scale_offset
	s_clause 0x3
	global_load_b64 v[28:29], v15, s[6:7] scale_offset
	global_load_b64 v[30:31], v15, s[12:13] scale_offset
	;; [unrolled: 1-line block ×4, first 2 shown]
	s_wait_loadcnt 0x7
	v_fma_f64 v[24:25], v[24:25], v[52:53], -v[44:45]
	s_wait_loadcnt 0x6
	v_fma_f64 v[44:45], v[52:53], v[54:55], -v[46:47]
	s_clause 0x2
	global_load_b64 v[46:47], v62, s[8:9] scale_offset
	global_load_b64 v[52:53], v62, s[6:7] scale_offset
	;; [unrolled: 1-line block ×5, first 2 shown]
	s_wait_xcnt 0x0
	s_load_b256 s[8:15], s[0:1], 0x0
	v_add_f64_e32 v[24:25], v[24:25], v[44:45]
	s_delay_alu instid0(VALU_DEP_1)
	v_fmac_f64_e32 v[12:13], 0x3fa374bc60000000, v[24:25]
	s_wait_loadcnt 0x9
	v_fma_f64 v[32:33], v[32:33], v[56:57], -v[48:49]
	s_wait_kmcnt 0x0
	s_clause 0x4
	global_load_b64 v[26:27], v14, s[8:9] scale_offset
	global_load_b64 v[42:43], v14, s[10:11] scale_offset
	;; [unrolled: 1-line block ×5, first 2 shown]
	s_wait_loadcnt 0xc
	v_mul_f64_e32 v[28:29], v[28:29], v[30:31]
	s_wait_loadcnt 0xb
	v_mul_f64_e32 v[34:35], v[30:31], v[34:35]
	;; [unrolled: 2-line block ×3, first 2 shown]
	s_wait_loadcnt 0x9
	v_add_f64_e64 v[38:39], v[46:47], -v[38:39]
	s_wait_loadcnt 0x6
	v_fma_f64 v[36:37], v[56:57], v[58:59], -v[50:51]
	v_fma_f64 v[28:29], v[52:53], v[54:55], -v[28:29]
	s_wait_loadcnt 0x5
	v_fma_f64 v[16:17], v[54:55], v[16:17], -v[34:35]
	v_fma_f64 v[30:31], v[46:47], v[54:55], -v[30:31]
	v_fmac_f64_e32 v[18:19], 0xbf6cac0840000000, v[38:39]
	v_add_f64_e32 v[4:5], v[32:33], v[36:37]
	v_fmac_f64_e32 v[0:1], 0xbf6cac0840000000, v[28:29]
	v_fmac_f64_e32 v[2:3], 0xbf6cac0840000000, v[16:17]
	v_add_f64_e32 v[30:31], v[30:31], v[40:41]
	s_delay_alu instid0(VALU_DEP_4) | instskip(NEXT) | instid1(VALU_DEP_2)
	v_fmac_f64_e32 v[12:13], 0xbf6cac0840000000, v[4:5]
	v_fmac_f64_e32 v[10:11], 0xbf6cac0840000000, v[30:31]
	s_wait_loadcnt 0x4
	v_fma_f64 v[4:5], -s[16:17], v[18:19], v[26:27]
	s_wait_loadcnt 0x3
	v_fma_f64 v[0:1], -s[16:17], v[0:1], v[42:43]
	s_wait_loadcnt 0x2
	s_delay_alu instid0(VALU_DEP_3)
	v_fma_f64 v[6:7], -s[16:17], v[10:11], v[44:45]
	s_wait_loadcnt 0x1
	v_fma_f64 v[2:3], -s[16:17], v[2:3], v[48:49]
	s_wait_loadcnt 0x0
	v_fma_f64 v[8:9], -s[18:19], v[12:13], v[22:23]
	s_clause 0x4
	global_store_b64 v14, v[4:5], s[8:9] scale_offset
	global_store_b64 v14, v[0:1], s[10:11] scale_offset
	;; [unrolled: 1-line block ×5, first 2 shown]
.LBB1_2:
	s_endpgm
	.section	.rodata,"a",@progbits
	.p2align	6, 0x0
	.amdhsa_kernel _Z9hypterm_2PdS_S_S_S_PKdS1_S1_S1_S1_S1_S1_S1_dddiii
		.amdhsa_group_segment_fixed_size 0
		.amdhsa_private_segment_fixed_size 0
		.amdhsa_kernarg_size 400
		.amdhsa_user_sgpr_count 2
		.amdhsa_user_sgpr_dispatch_ptr 0
		.amdhsa_user_sgpr_queue_ptr 0
		.amdhsa_user_sgpr_kernarg_segment_ptr 1
		.amdhsa_user_sgpr_dispatch_id 0
		.amdhsa_user_sgpr_kernarg_preload_length 0
		.amdhsa_user_sgpr_kernarg_preload_offset 0
		.amdhsa_user_sgpr_private_segment_size 0
		.amdhsa_wavefront_size32 1
		.amdhsa_uses_dynamic_stack 0
		.amdhsa_enable_private_segment 0
		.amdhsa_system_sgpr_workgroup_id_x 1
		.amdhsa_system_sgpr_workgroup_id_y 1
		.amdhsa_system_sgpr_workgroup_id_z 1
		.amdhsa_system_sgpr_workgroup_info 0
		.amdhsa_system_vgpr_workitem_id 2
		.amdhsa_next_free_vgpr 63
		.amdhsa_next_free_sgpr 25
		.amdhsa_named_barrier_count 0
		.amdhsa_reserve_vcc 1
		.amdhsa_float_round_mode_32 0
		.amdhsa_float_round_mode_16_64 0
		.amdhsa_float_denorm_mode_32 3
		.amdhsa_float_denorm_mode_16_64 3
		.amdhsa_fp16_overflow 0
		.amdhsa_memory_ordered 1
		.amdhsa_forward_progress 1
		.amdhsa_inst_pref_size 20
		.amdhsa_round_robin_scheduling 0
		.amdhsa_exception_fp_ieee_invalid_op 0
		.amdhsa_exception_fp_denorm_src 0
		.amdhsa_exception_fp_ieee_div_zero 0
		.amdhsa_exception_fp_ieee_overflow 0
		.amdhsa_exception_fp_ieee_underflow 0
		.amdhsa_exception_fp_ieee_inexact 0
		.amdhsa_exception_int_div_zero 0
	.end_amdhsa_kernel
	.text
.Lfunc_end1:
	.size	_Z9hypterm_2PdS_S_S_S_PKdS1_S1_S1_S1_S1_S1_S1_dddiii, .Lfunc_end1-_Z9hypterm_2PdS_S_S_S_PKdS1_S1_S1_S1_S1_S1_S1_dddiii
                                        ; -- End function
	.set _Z9hypterm_2PdS_S_S_S_PKdS1_S1_S1_S1_S1_S1_S1_dddiii.num_vgpr, 63
	.set _Z9hypterm_2PdS_S_S_S_PKdS1_S1_S1_S1_S1_S1_S1_dddiii.num_agpr, 0
	.set _Z9hypterm_2PdS_S_S_S_PKdS1_S1_S1_S1_S1_S1_S1_dddiii.numbered_sgpr, 25
	.set _Z9hypterm_2PdS_S_S_S_PKdS1_S1_S1_S1_S1_S1_S1_dddiii.num_named_barrier, 0
	.set _Z9hypterm_2PdS_S_S_S_PKdS1_S1_S1_S1_S1_S1_S1_dddiii.private_seg_size, 0
	.set _Z9hypterm_2PdS_S_S_S_PKdS1_S1_S1_S1_S1_S1_S1_dddiii.uses_vcc, 1
	.set _Z9hypterm_2PdS_S_S_S_PKdS1_S1_S1_S1_S1_S1_S1_dddiii.uses_flat_scratch, 0
	.set _Z9hypterm_2PdS_S_S_S_PKdS1_S1_S1_S1_S1_S1_S1_dddiii.has_dyn_sized_stack, 0
	.set _Z9hypterm_2PdS_S_S_S_PKdS1_S1_S1_S1_S1_S1_S1_dddiii.has_recursion, 0
	.set _Z9hypterm_2PdS_S_S_S_PKdS1_S1_S1_S1_S1_S1_S1_dddiii.has_indirect_call, 0
	.section	.AMDGPU.csdata,"",@progbits
; Kernel info:
; codeLenInByte = 2480
; TotalNumSgprs: 27
; NumVgprs: 63
; ScratchSize: 0
; MemoryBound: 0
; FloatMode: 240
; IeeeMode: 1
; LDSByteSize: 0 bytes/workgroup (compile time only)
; SGPRBlocks: 0
; VGPRBlocks: 3
; NumSGPRsForWavesPerEU: 27
; NumVGPRsForWavesPerEU: 63
; NamedBarCnt: 0
; Occupancy: 16
; WaveLimiterHint : 0
; COMPUTE_PGM_RSRC2:SCRATCH_EN: 0
; COMPUTE_PGM_RSRC2:USER_SGPR: 2
; COMPUTE_PGM_RSRC2:TRAP_HANDLER: 0
; COMPUTE_PGM_RSRC2:TGID_X_EN: 1
; COMPUTE_PGM_RSRC2:TGID_Y_EN: 1
; COMPUTE_PGM_RSRC2:TGID_Z_EN: 1
; COMPUTE_PGM_RSRC2:TIDIG_COMP_CNT: 2
	.text
	.protected	_Z9hypterm_3PdS_S_S_S_PKdS1_S1_S1_S1_S1_S1_S1_dddiii ; -- Begin function _Z9hypterm_3PdS_S_S_S_PKdS1_S1_S1_S1_S1_S1_S1_dddiii
	.globl	_Z9hypterm_3PdS_S_S_S_PKdS1_S1_S1_S1_S1_S1_S1_dddiii
	.p2align	8
	.type	_Z9hypterm_3PdS_S_S_S_PKdS1_S1_S1_S1_S1_S1_S1_dddiii,@function
_Z9hypterm_3PdS_S_S_S_PKdS1_S1_S1_S1_S1_S1_S1_dddiii: ; @_Z9hypterm_3PdS_S_S_S_PKdS1_S1_S1_S1_S1_S1_S1_dddiii
; %bb.0:
	s_bfe_u32 s2, ttmp6, 0x40014
	s_lshr_b32 s3, ttmp7, 16
	s_add_co_i32 s2, s2, 1
	s_bfe_u32 s4, ttmp6, 0x40008
	s_mul_i32 s2, s3, s2
	s_getreg_b32 s5, hwreg(HW_REG_IB_STS2, 6, 4)
	s_add_co_i32 s4, s4, s2
	s_cmp_eq_u32 s5, 0
	v_and_b32_e32 v1, 0x3ff, v0
	s_cselect_b32 s4, s3, s4
	s_clause 0x1
	s_load_b64 s[2:3], s[0:1], 0x9c
	s_load_b64 s[20:21], s[0:1], 0x84
	s_bfe_u32 s7, ttmp6, 0x40010
	s_and_b32 s6, ttmp7, 0xffff
	s_add_co_i32 s7, s7, 1
	s_bfe_u32 s8, ttmp6, 0x40004
	s_mul_i32 s7, s6, s7
	v_bfe_u32 v2, v0, 10, 10
	s_add_co_i32 s8, s8, s7
	s_cmp_eq_u32 s5, 0
	v_bfe_u32 v3, v0, 20, 10
	s_cselect_b32 s6, s6, s8
	s_bfe_u32 s7, ttmp6, 0x4000c
	s_and_b32 s8, ttmp6, 15
	s_add_co_i32 s7, s7, 1
	s_delay_alu instid0(SALU_CYCLE_1) | instskip(NEXT) | instid1(SALU_CYCLE_1)
	s_mul_i32 s7, ttmp9, s7
	s_add_co_i32 s8, s8, s7
	s_cmp_eq_u32 s5, 0
	s_cselect_b32 s5, ttmp9, s8
	s_wait_kmcnt 0x0
	s_and_b32 s7, s2, 0xffff
	s_and_b32 s3, s3, 0xffff
	s_lshr_b32 s2, s2, 16
	s_mul_i32 s5, s5, s7
	s_mul_i32 s6, s6, s2
	;; [unrolled: 1-line block ×3, first 2 shown]
	s_max_i32 s5, s5, 0
	s_max_i32 s2, s6, 0
	;; [unrolled: 1-line block ×3, first 2 shown]
	v_dual_add_nc_u32 v1, s5, v1 :: v_dual_add_nc_u32 v0, s2, v2
	v_add_nc_u32_e32 v2, s3, v3
	s_add_co_i32 s2, s21, -5
	s_delay_alu instid0(VALU_DEP_1) | instskip(SKIP_1) | instid1(VALU_DEP_2)
	v_min3_u32 v3, v1, v0, v2
	v_max3_i32 v4, v1, v0, v2
	v_cmp_lt_u32_e32 vcc_lo, 3, v3
	s_delay_alu instid0(VALU_DEP_2) | instskip(SKIP_1) | instid1(SALU_CYCLE_1)
	v_cmp_ge_i32_e64 s2, s2, v4
	s_and_b32 s2, s2, vcc_lo
	s_and_saveexec_b32 s3, s2
	s_cbranch_execz .LBB2_2
; %bb.1:
	v_mul_lo_u32 v32, v2, s20
	s_clause 0x2
	s_load_b64 s[22:23], s[0:1], 0x40
	s_load_b128 s[12:15], s[0:1], 0x50
	s_load_b64 s[2:3], s[0:1], 0x60
	s_lshl_b32 s4, s20, 1
	s_load_b128 s[16:19], s[0:1], 0x70
	s_delay_alu instid0(VALU_DEP_1) | instskip(SKIP_1) | instid1(VALU_DEP_2)
	v_add_nc_u32_e32 v38, v32, v0
	v_add_nc_u32_e32 v52, s20, v32
	v_mad_u32 v58, v38, s21, v1
	s_delay_alu instid0(VALU_DEP_2) | instskip(SKIP_1) | instid1(VALU_DEP_2)
	v_subrev_nc_u32_e32 v59, s4, v52
	s_load_b256 s[4:11], s[0:1], 0x20
	v_add_nc_u32_e32 v14, s21, v58
	v_dual_add_nc_u32 v2, -1, v38 :: v_dual_add_nc_u32 v15, -3, v38
	v_add_nc_u32_e32 v40, 3, v38
	s_delay_alu instid0(VALU_DEP_2)
	v_mad_u32 v8, v2, s21, v1
	s_wait_kmcnt 0x0
	s_clause 0x2
	global_load_b64 v[2:3], v8, s[22:23] scale_offset
	global_load_b64 v[4:5], v8, s[12:13] scale_offset
	;; [unrolled: 1-line block ×3, first 2 shown]
	s_clause 0x2
	global_load_b64 v[8:9], v14, s[22:23] scale_offset
	global_load_b64 v[10:11], v14, s[12:13] scale_offset
	;; [unrolled: 1-line block ×3, first 2 shown]
	s_wait_xcnt 0x0
	v_add_nc_u32_e32 v14, -2, v38
	v_mad_u32 v27, v15, s21, v1
	v_mad_u32 v53, v40, s21, v1
	s_delay_alu instid0(VALU_DEP_3)
	v_mad_u32 v26, v14, s21, v1
	s_clause 0x2
	global_load_b64 v[14:15], v26, s[22:23] scale_offset
	global_load_b64 v[16:17], v26, s[12:13] scale_offset
	;; [unrolled: 1-line block ×3, first 2 shown]
	s_clause 0x2
	global_load_b64 v[20:21], v27, s[22:23] scale_offset
	global_load_b64 v[22:23], v27, s[12:13] scale_offset
	;; [unrolled: 1-line block ×3, first 2 shown]
	s_wait_xcnt 0x3
	v_add_nc_u32_e32 v26, -4, v38
	s_delay_alu instid0(VALU_DEP_1)
	v_mad_u32 v33, v26, s21, v1
	s_clause 0x2
	global_load_b64 v[26:27], v33, s[22:23] scale_offset
	global_load_b64 v[28:29], v33, s[12:13] scale_offset
	global_load_b64 v[30:31], v33, s[2:3] scale_offset
	s_wait_xcnt 0x0
	v_dual_add_nc_u32 v33, 2, v38 :: v_dual_add_nc_u32 v38, 4, v38
	s_delay_alu instid0(VALU_DEP_1)
	v_mad_u32 v39, v33, s21, v1
	s_clause 0x2
	global_load_b64 v[32:33], v39, s[22:23] scale_offset
	global_load_b64 v[34:35], v39, s[12:13] scale_offset
	;; [unrolled: 1-line block ×3, first 2 shown]
	s_wait_xcnt 0x0
	v_add_nc_u32_e32 v39, v59, v0
	v_mad_u32 v59, s20, 3, v59
	s_delay_alu instid0(VALU_DEP_2)
	v_mad_u32 v60, v39, s21, v1
	s_wait_loadcnt 0x10
	v_mul_f64_e32 v[2:3], v[2:3], v[4:5]
	v_mad_u32 v54, v38, s21, v1
	s_clause 0x1
	global_load_b64 v[38:39], v60, s[6:7] scale_offset
	global_load_b64 v[40:41], v60, s[14:15] scale_offset
	s_wait_loadcnt 0x11
	v_mul_f64_e32 v[4:5], v[4:5], v[6:7]
	s_clause 0x2
	global_load_b64 v[6:7], v53, s[22:23] scale_offset
	global_load_b64 v[42:43], v53, s[12:13] scale_offset
	;; [unrolled: 1-line block ×3, first 2 shown]
	s_clause 0x2
	global_load_b64 v[46:47], v54, s[22:23] scale_offset
	global_load_b64 v[48:49], v54, s[12:13] scale_offset
	;; [unrolled: 1-line block ×3, first 2 shown]
	s_wait_xcnt 0x1
	s_lshl_b32 s12, s20, 2
	s_wait_loadcnt 0x12
	v_mul_f64_e32 v[14:15], v[14:15], v[16:17]
	s_wait_loadcnt 0x11
	v_mul_f64_e32 v[16:17], v[16:17], v[18:19]
	;; [unrolled: 2-line block ×3, first 2 shown]
	v_add_nc_u32_e32 v52, v52, v0
	s_wait_loadcnt 0xe
	v_mul_f64_e32 v[22:23], v[22:23], v[24:25]
	v_fma_f64 v[2:3], v[8:9], v[10:11], -v[2:3]
	s_wait_loadcnt 0xc
	v_mul_f64_e32 v[26:27], v[26:27], v[28:29]
	s_wait_loadcnt 0xb
	v_mul_f64_e32 v[28:29], v[28:29], v[30:31]
	s_wait_loadcnt 0x9
	v_fma_f64 v[14:15], v[32:33], v[34:35], -v[14:15]
	s_wait_loadcnt 0x8
	v_fma_f64 v[16:17], v[34:35], v[36:37], -v[16:17]
	v_add_nc_u32_e32 v34, v59, v0
	v_fma_f64 v[4:5], v[10:11], v[12:13], -v[4:5]
	s_wait_loadcnt 0x6
	v_mul_f64_e32 v[36:37], v[38:39], v[40:41]
	s_wait_loadcnt 0x4
	v_fma_f64 v[6:7], v[6:7], v[42:43], -v[20:21]
	v_mad_u32 v61, v52, s21, v1
	s_clause 0x1
	global_load_b64 v[52:53], v60, s[10:11] scale_offset
	global_load_b64 v[54:55], v60, s[8:9] scale_offset
	s_wait_loadcnt 0x5
	v_fma_f64 v[20:21], v[42:43], v[44:45], -v[22:23]
	s_wait_loadcnt 0x2
	v_fma_f64 v[28:29], v[48:49], v[50:51], -v[28:29]
	v_fma_f64 v[26:27], v[46:47], v[48:49], -v[26:27]
	s_clause 0x5
	global_load_b64 v[8:9], v61, s[6:7] scale_offset
	global_load_b64 v[10:11], v61, s[14:15] scale_offset
	;; [unrolled: 1-line block ×6, first 2 shown]
	s_wait_xcnt 0x0
	v_subrev_nc_u32_e32 v60, s12, v59
	v_mad_u32 v59, v34, s21, v1
	s_lshl_b32 s12, s20, 3
	s_delay_alu instid0(VALU_DEP_2) | instskip(SKIP_1) | instid1(VALU_DEP_1)
	v_add_nc_u32_e32 v30, v60, v0
	v_mad_u32 v60, s20, 5, v60
	v_mad_u32 v50, s20, -6, v60
	v_add_nc_u32_e32 v60, v60, v0
	s_delay_alu instid0(VALU_DEP_4)
	v_mad_u32 v61, v30, s21, v1
	v_add_f64_e32 v[6:7], v[6:7], v[20:21]
	s_clause 0x4
	global_load_b64 v[30:31], v61, s[6:7] scale_offset
	global_load_b64 v[32:33], v61, s[14:15] scale_offset
	;; [unrolled: 1-line block ×5, first 2 shown]
	s_clause 0x2
	global_load_b64 v[42:43], v59, s[6:7] scale_offset
	global_load_b64 v[44:45], v59, s[2:3] scale_offset
	global_load_b64 v[46:47], v59, s[14:15] scale_offset
	v_mad_u32 v51, s20, 7, v50
	s_wait_xcnt 0x3
	s_delay_alu instid0(VALU_DEP_1)
	v_subrev_nc_u32_e32 v61, s12, v51
	s_wait_loadcnt 0xe
	v_mul_f64_e32 v[48:49], v[40:41], v[54:55]
	v_mul_f64_e32 v[40:41], v[52:53], v[40:41]
	v_dual_add_nc_u32 v54, v50, v0 :: v_dual_add_nc_u32 v55, v51, v0
	v_add_nc_u32_e32 v0, v61, v0
	v_add_f64_e32 v[2:3], v[2:3], v[4:5]
	global_load_b64 v[50:51], v59, s[10:11] scale_offset
	v_add_f64_e32 v[4:5], v[14:15], v[16:17]
	v_mad_u32 v61, v55, s21, v1
	s_wait_loadcnt 0xd
	v_fma_f64 v[8:9], v[8:9], v[10:11], -v[36:37]
	global_load_b64 v[36:37], v59, s[8:9] scale_offset
	s_wait_xcnt 0x0
	v_mad_u32 v59, v60, s21, v1
	v_mad_u32 v60, v54, s21, v1
	;; [unrolled: 1-line block ×3, first 2 shown]
	s_wait_loadcnt 0xa
	v_add_f64_e64 v[24:25], v[24:25], -v[56:57]
	v_fma_f64 v[0:1], v[10:11], v[12:13], -v[48:49]
	s_clause 0x1
	global_load_b64 v[12:13], v59, s[2:3] scale_offset
	global_load_b64 v[48:49], v61, s[2:3] scale_offset
	v_fma_f64 v[10:11], v[18:19], v[10:11], -v[40:41]
	global_load_b64 v[40:41], v60, s[2:3] scale_offset
	v_add_f64_e64 v[18:19], v[18:19], -v[52:53]
	global_load_b64 v[52:53], v62, s[2:3] scale_offset
	v_mul_f64_e32 v[4:5], 0x3fc99999a0000000, v[4:5]
	s_wait_loadcnt 0xc
	v_mul_f64_e32 v[30:31], v[30:31], v[32:33]
	s_wait_loadcnt 0xb
	;; [unrolled: 2-line block ×4, first 2 shown]
	v_add_f64_e64 v[38:39], v[44:45], -v[38:39]
	v_add_f64_e32 v[10:11], v[10:11], v[24:25]
	s_wait_loadcnt 0x6
	v_fma_f64 v[30:31], v[42:43], v[46:47], -v[30:31]
	s_clause 0x1
	global_load_b64 v[42:43], v60, s[6:7] scale_offset
	global_load_b64 v[44:45], v60, s[14:15] scale_offset
	v_mul_f64_e32 v[30:31], 0x3fc99999a0000000, v[30:31]
	s_wait_loadcnt 0x7
	v_add_f64_e64 v[22:23], v[50:51], -v[22:23]
	v_fma_f64 v[32:33], v[50:51], v[46:47], -v[32:33]
	s_wait_loadcnt 0x6
	v_fma_f64 v[34:35], v[46:47], v[36:37], -v[34:35]
	s_clause 0x1
	global_load_b64 v[36:37], v60, s[10:11] scale_offset
	global_load_b64 v[54:55], v60, s[8:9] scale_offset
	s_clause 0x1
	global_load_b64 v[46:47], v59, s[6:7] scale_offset
	global_load_b64 v[50:51], v59, s[14:15] scale_offset
	s_wait_loadcnt 0x7
	v_add_f64_e64 v[12:13], v[12:13], -v[40:41]
	global_load_b64 v[40:41], v59, s[10:11] scale_offset
	s_wait_loadcnt 0x7
	v_add_f64_e64 v[48:49], v[48:49], -v[52:53]
	global_load_b64 v[52:53], v59, s[8:9] scale_offset
	s_clause 0x1
	global_load_b64 v[14:15], v62, s[6:7] scale_offset
	global_load_b64 v[16:17], v62, s[14:15] scale_offset
	v_mul_f64_e32 v[22:23], 0x3fc99999a0000000, v[22:23]
	v_mul_f64_e32 v[34:35], 0x3fc99999a0000000, v[34:35]
	s_wait_loadcnt 0x8
	v_mul_f64_e32 v[42:43], v[42:43], v[44:45]
	s_wait_loadcnt 0x6
	v_mul_f64_e32 v[54:55], v[44:45], v[54:55]
	v_mul_f64_e32 v[44:45], v[36:37], v[44:45]
	s_wait_loadcnt 0x4
	s_delay_alu instid0(VALU_DEP_3)
	v_fma_f64 v[42:43], v[46:47], v[50:51], -v[42:43]
	s_clause 0x1
	global_load_b64 v[46:47], v62, s[8:9] scale_offset
	global_load_b64 v[56:57], v62, s[10:11] scale_offset
	s_wait_loadcnt 0x5
	v_add_f64_e64 v[36:37], v[40:41], -v[36:37]
	s_wait_loadcnt 0x2
	v_mul_f64_e32 v[14:15], v[14:15], v[16:17]
	v_fma_f64 v[52:53], v[50:51], v[52:53], -v[54:55]
	v_fma_f64 v[40:41], v[40:41], v[50:51], -v[44:45]
	s_clause 0x3
	global_load_b64 v[44:45], v61, s[10:11] scale_offset
	global_load_b64 v[50:51], v61, s[6:7] scale_offset
	;; [unrolled: 1-line block ×4, first 2 shown]
	s_wait_xcnt 0x0
	s_load_b256 s[8:15], s[0:1], 0x0
	s_wait_xcnt 0x0
	s_mov_b64 s[0:1], 0x3fe99999a0000000
	s_delay_alu instid0(SALU_CYCLE_1)
	v_fma_f64 v[18:19], v[18:19], s[0:1], -v[22:23]
	v_add_f64_e32 v[22:23], v[32:33], v[38:39]
	v_fma_f64 v[8:9], v[8:9], s[0:1], -v[30:31]
	v_fma_f64 v[0:1], v[0:1], s[0:1], -v[34:35]
	;; [unrolled: 1-line block ×3, first 2 shown]
	v_add_f64_e32 v[12:13], v[40:41], v[12:13]
	s_wait_kmcnt 0x0
	s_clause 0x4
	global_load_b64 v[24:25], v58, s[8:9] scale_offset
	global_load_b64 v[32:33], v58, s[10:11] scale_offset
	;; [unrolled: 1-line block ×5, first 2 shown]
	v_fmac_f64_e32 v[18:19], 0x3fa374bc60000000, v[36:37]
	v_mul_f64_e32 v[22:23], 0x3fc99999a0000000, v[22:23]
	v_fmac_f64_e32 v[8:9], 0x3fa374bc60000000, v[42:43]
	v_fmac_f64_e32 v[0:1], 0x3fa374bc60000000, v[52:53]
	;; [unrolled: 1-line block ×3, first 2 shown]
	s_delay_alu instid0(VALU_DEP_4) | instskip(SKIP_1) | instid1(VALU_DEP_2)
	v_fma_f64 v[10:11], v[10:11], s[0:1], -v[22:23]
	v_add_f64_e32 v[22:23], v[26:27], v[28:29]
	v_fmac_f64_e32 v[10:11], 0x3fa374bc60000000, v[12:13]
	s_delay_alu instid0(VALU_DEP_2)
	v_fmac_f64_e32 v[2:3], 0xbf6cac0840000000, v[22:23]
	s_wait_loadcnt 0xa
	v_mul_f64_e32 v[46:47], v[16:17], v[46:47]
	s_wait_loadcnt 0x9
	v_mul_f64_e32 v[16:17], v[56:57], v[16:17]
	s_wait_loadcnt 0x8
	v_add_f64_e64 v[4:5], v[44:45], -v[56:57]
	s_wait_loadcnt 0x6
	v_fma_f64 v[14:15], v[50:51], v[54:55], -v[14:15]
	s_delay_alu instid0(VALU_DEP_3) | instskip(SKIP_2) | instid1(VALU_DEP_4)
	v_fma_f64 v[16:17], v[44:45], v[54:55], -v[16:17]
	s_wait_loadcnt 0x5
	v_fma_f64 v[20:21], v[54:55], v[20:21], -v[46:47]
	v_fmac_f64_e32 v[18:19], 0xbf6cac0840000000, v[4:5]
	s_delay_alu instid0(VALU_DEP_4) | instskip(NEXT) | instid1(VALU_DEP_4)
	v_fmac_f64_e32 v[8:9], 0xbf6cac0840000000, v[14:15]
	v_add_f64_e32 v[16:17], v[16:17], v[48:49]
	s_delay_alu instid0(VALU_DEP_4)
	v_fmac_f64_e32 v[0:1], 0xbf6cac0840000000, v[20:21]
	s_wait_loadcnt 0x0
	v_fma_f64 v[2:3], -s[16:17], v[2:3], v[30:31]
	v_fma_f64 v[4:5], -s[18:19], v[18:19], v[24:25]
	;; [unrolled: 1-line block ×3, first 2 shown]
	v_fmac_f64_e32 v[10:11], 0xbf6cac0840000000, v[16:17]
	v_fma_f64 v[0:1], -s[18:19], v[0:1], v[38:39]
	s_delay_alu instid0(VALU_DEP_2)
	v_fma_f64 v[8:9], -s[18:19], v[10:11], v[40:41]
	s_clause 0x4
	global_store_b64 v58, v[4:5], s[8:9] scale_offset
	global_store_b64 v58, v[6:7], s[10:11] scale_offset
	;; [unrolled: 1-line block ×5, first 2 shown]
.LBB2_2:
	s_endpgm
	.section	.rodata,"a",@progbits
	.p2align	6, 0x0
	.amdhsa_kernel _Z9hypterm_3PdS_S_S_S_PKdS1_S1_S1_S1_S1_S1_S1_dddiii
		.amdhsa_group_segment_fixed_size 0
		.amdhsa_private_segment_fixed_size 0
		.amdhsa_kernarg_size 400
		.amdhsa_user_sgpr_count 2
		.amdhsa_user_sgpr_dispatch_ptr 0
		.amdhsa_user_sgpr_queue_ptr 0
		.amdhsa_user_sgpr_kernarg_segment_ptr 1
		.amdhsa_user_sgpr_dispatch_id 0
		.amdhsa_user_sgpr_kernarg_preload_length 0
		.amdhsa_user_sgpr_kernarg_preload_offset 0
		.amdhsa_user_sgpr_private_segment_size 0
		.amdhsa_wavefront_size32 1
		.amdhsa_uses_dynamic_stack 0
		.amdhsa_enable_private_segment 0
		.amdhsa_system_sgpr_workgroup_id_x 1
		.amdhsa_system_sgpr_workgroup_id_y 1
		.amdhsa_system_sgpr_workgroup_id_z 1
		.amdhsa_system_sgpr_workgroup_info 0
		.amdhsa_system_vgpr_workitem_id 2
		.amdhsa_next_free_vgpr 63
		.amdhsa_next_free_sgpr 24
		.amdhsa_named_barrier_count 0
		.amdhsa_reserve_vcc 1
		.amdhsa_float_round_mode_32 0
		.amdhsa_float_round_mode_16_64 0
		.amdhsa_float_denorm_mode_32 3
		.amdhsa_float_denorm_mode_16_64 3
		.amdhsa_fp16_overflow 0
		.amdhsa_memory_ordered 1
		.amdhsa_forward_progress 1
		.amdhsa_inst_pref_size 20
		.amdhsa_round_robin_scheduling 0
		.amdhsa_exception_fp_ieee_invalid_op 0
		.amdhsa_exception_fp_denorm_src 0
		.amdhsa_exception_fp_ieee_div_zero 0
		.amdhsa_exception_fp_ieee_overflow 0
		.amdhsa_exception_fp_ieee_underflow 0
		.amdhsa_exception_fp_ieee_inexact 0
		.amdhsa_exception_int_div_zero 0
	.end_amdhsa_kernel
	.text
.Lfunc_end2:
	.size	_Z9hypterm_3PdS_S_S_S_PKdS1_S1_S1_S1_S1_S1_S1_dddiii, .Lfunc_end2-_Z9hypterm_3PdS_S_S_S_PKdS1_S1_S1_S1_S1_S1_S1_dddiii
                                        ; -- End function
	.set _Z9hypterm_3PdS_S_S_S_PKdS1_S1_S1_S1_S1_S1_S1_dddiii.num_vgpr, 63
	.set _Z9hypterm_3PdS_S_S_S_PKdS1_S1_S1_S1_S1_S1_S1_dddiii.num_agpr, 0
	.set _Z9hypterm_3PdS_S_S_S_PKdS1_S1_S1_S1_S1_S1_S1_dddiii.numbered_sgpr, 24
	.set _Z9hypterm_3PdS_S_S_S_PKdS1_S1_S1_S1_S1_S1_S1_dddiii.num_named_barrier, 0
	.set _Z9hypterm_3PdS_S_S_S_PKdS1_S1_S1_S1_S1_S1_S1_dddiii.private_seg_size, 0
	.set _Z9hypterm_3PdS_S_S_S_PKdS1_S1_S1_S1_S1_S1_S1_dddiii.uses_vcc, 1
	.set _Z9hypterm_3PdS_S_S_S_PKdS1_S1_S1_S1_S1_S1_S1_dddiii.uses_flat_scratch, 0
	.set _Z9hypterm_3PdS_S_S_S_PKdS1_S1_S1_S1_S1_S1_S1_dddiii.has_dyn_sized_stack, 0
	.set _Z9hypterm_3PdS_S_S_S_PKdS1_S1_S1_S1_S1_S1_S1_dddiii.has_recursion, 0
	.set _Z9hypterm_3PdS_S_S_S_PKdS1_S1_S1_S1_S1_S1_S1_dddiii.has_indirect_call, 0
	.section	.AMDGPU.csdata,"",@progbits
; Kernel info:
; codeLenInByte = 2468
; TotalNumSgprs: 26
; NumVgprs: 63
; ScratchSize: 0
; MemoryBound: 0
; FloatMode: 240
; IeeeMode: 1
; LDSByteSize: 0 bytes/workgroup (compile time only)
; SGPRBlocks: 0
; VGPRBlocks: 3
; NumSGPRsForWavesPerEU: 26
; NumVGPRsForWavesPerEU: 63
; NamedBarCnt: 0
; Occupancy: 16
; WaveLimiterHint : 0
; COMPUTE_PGM_RSRC2:SCRATCH_EN: 0
; COMPUTE_PGM_RSRC2:USER_SGPR: 2
; COMPUTE_PGM_RSRC2:TRAP_HANDLER: 0
; COMPUTE_PGM_RSRC2:TGID_X_EN: 1
; COMPUTE_PGM_RSRC2:TGID_Y_EN: 1
; COMPUTE_PGM_RSRC2:TGID_Z_EN: 1
; COMPUTE_PGM_RSRC2:TIDIG_COMP_CNT: 2
	.text
	.p2alignl 7, 3214868480
	.fill 96, 4, 3214868480
	.section	.AMDGPU.gpr_maximums,"",@progbits
	.set amdgpu.max_num_vgpr, 0
	.set amdgpu.max_num_agpr, 0
	.set amdgpu.max_num_sgpr, 0
	.text
	.type	__hip_cuid_9b2c54c6907be42d,@object ; @__hip_cuid_9b2c54c6907be42d
	.section	.bss,"aw",@nobits
	.globl	__hip_cuid_9b2c54c6907be42d
__hip_cuid_9b2c54c6907be42d:
	.byte	0                               ; 0x0
	.size	__hip_cuid_9b2c54c6907be42d, 1

	.ident	"AMD clang version 22.0.0git (https://github.com/RadeonOpenCompute/llvm-project roc-7.2.4 26084 f58b06dce1f9c15707c5f808fd002e18c2accf7e)"
	.section	".note.GNU-stack","",@progbits
	.addrsig
	.addrsig_sym __hip_cuid_9b2c54c6907be42d
	.amdgpu_metadata
---
amdhsa.kernels:
  - .args:
      - .actual_access:  write_only
        .address_space:  global
        .offset:         0
        .size:           8
        .value_kind:     global_buffer
      - .actual_access:  write_only
        .address_space:  global
        .offset:         8
        .size:           8
        .value_kind:     global_buffer
      - .actual_access:  write_only
        .address_space:  global
        .offset:         16
        .size:           8
        .value_kind:     global_buffer
      - .actual_access:  write_only
        .address_space:  global
        .offset:         24
        .size:           8
        .value_kind:     global_buffer
      - .actual_access:  write_only
        .address_space:  global
        .offset:         32
        .size:           8
        .value_kind:     global_buffer
      - .actual_access:  read_only
        .address_space:  global
        .offset:         40
        .size:           8
        .value_kind:     global_buffer
      - .actual_access:  read_only
        .address_space:  global
        .offset:         48
        .size:           8
        .value_kind:     global_buffer
      - .actual_access:  read_only
        .address_space:  global
        .offset:         56
        .size:           8
        .value_kind:     global_buffer
      - .actual_access:  read_only
        .address_space:  global
        .offset:         64
        .size:           8
        .value_kind:     global_buffer
      - .actual_access:  read_only
        .address_space:  global
        .offset:         72
        .size:           8
        .value_kind:     global_buffer
      - .actual_access:  read_only
        .address_space:  global
        .offset:         80
        .size:           8
        .value_kind:     global_buffer
      - .actual_access:  read_only
        .address_space:  global
        .offset:         88
        .size:           8
        .value_kind:     global_buffer
      - .actual_access:  read_only
        .address_space:  global
        .offset:         96
        .size:           8
        .value_kind:     global_buffer
      - .offset:         104
        .size:           8
        .value_kind:     by_value
      - .offset:         112
        .size:           8
        .value_kind:     by_value
      - .offset:         120
        .size:           8
        .value_kind:     by_value
      - .offset:         128
        .size:           4
        .value_kind:     by_value
      - .offset:         132
        .size:           4
        .value_kind:     by_value
      - .offset:         136
        .size:           4
        .value_kind:     by_value
      - .offset:         144
        .size:           4
        .value_kind:     hidden_block_count_x
      - .offset:         148
        .size:           4
        .value_kind:     hidden_block_count_y
      - .offset:         152
        .size:           4
        .value_kind:     hidden_block_count_z
      - .offset:         156
        .size:           2
        .value_kind:     hidden_group_size_x
      - .offset:         158
        .size:           2
        .value_kind:     hidden_group_size_y
      - .offset:         160
        .size:           2
        .value_kind:     hidden_group_size_z
      - .offset:         162
        .size:           2
        .value_kind:     hidden_remainder_x
      - .offset:         164
        .size:           2
        .value_kind:     hidden_remainder_y
      - .offset:         166
        .size:           2
        .value_kind:     hidden_remainder_z
      - .offset:         184
        .size:           8
        .value_kind:     hidden_global_offset_x
      - .offset:         192
        .size:           8
        .value_kind:     hidden_global_offset_y
      - .offset:         200
        .size:           8
        .value_kind:     hidden_global_offset_z
      - .offset:         208
        .size:           2
        .value_kind:     hidden_grid_dims
    .group_segment_fixed_size: 0
    .kernarg_segment_align: 8
    .kernarg_segment_size: 400
    .language:       OpenCL C
    .language_version:
      - 2
      - 0
    .max_flat_workgroup_size: 1024
    .name:           _Z9hypterm_1PdS_S_S_S_PKdS1_S1_S1_S1_S1_S1_S1_dddiii
    .private_segment_fixed_size: 0
    .sgpr_count:     32
    .sgpr_spill_count: 0
    .symbol:         _Z9hypterm_1PdS_S_S_S_PKdS1_S1_S1_S1_S1_S1_S1_dddiii.kd
    .uniform_work_group_size: 1
    .uses_dynamic_stack: false
    .vgpr_count:     54
    .vgpr_spill_count: 0
    .wavefront_size: 32
  - .args:
      - .address_space:  global
        .offset:         0
        .size:           8
        .value_kind:     global_buffer
      - .address_space:  global
        .offset:         8
        .size:           8
        .value_kind:     global_buffer
      - .address_space:  global
        .offset:         16
        .size:           8
        .value_kind:     global_buffer
      - .address_space:  global
        .offset:         24
        .size:           8
        .value_kind:     global_buffer
      - .address_space:  global
        .offset:         32
        .size:           8
        .value_kind:     global_buffer
      - .actual_access:  read_only
        .address_space:  global
        .offset:         40
        .size:           8
        .value_kind:     global_buffer
      - .actual_access:  read_only
        .address_space:  global
        .offset:         48
        .size:           8
        .value_kind:     global_buffer
      - .actual_access:  read_only
        .address_space:  global
        .offset:         56
        .size:           8
        .value_kind:     global_buffer
      - .actual_access:  read_only
        .address_space:  global
        .offset:         64
        .size:           8
        .value_kind:     global_buffer
      - .actual_access:  read_only
        .address_space:  global
        .offset:         72
        .size:           8
        .value_kind:     global_buffer
      - .actual_access:  read_only
        .address_space:  global
        .offset:         80
        .size:           8
        .value_kind:     global_buffer
      - .actual_access:  read_only
        .address_space:  global
        .offset:         88
        .size:           8
        .value_kind:     global_buffer
      - .actual_access:  read_only
        .address_space:  global
        .offset:         96
        .size:           8
        .value_kind:     global_buffer
      - .offset:         104
        .size:           8
        .value_kind:     by_value
      - .offset:         112
        .size:           8
        .value_kind:     by_value
      - .offset:         120
        .size:           8
        .value_kind:     by_value
      - .offset:         128
        .size:           4
        .value_kind:     by_value
      - .offset:         132
        .size:           4
        .value_kind:     by_value
      - .offset:         136
        .size:           4
        .value_kind:     by_value
      - .offset:         144
        .size:           4
        .value_kind:     hidden_block_count_x
      - .offset:         148
        .size:           4
        .value_kind:     hidden_block_count_y
      - .offset:         152
        .size:           4
        .value_kind:     hidden_block_count_z
      - .offset:         156
        .size:           2
        .value_kind:     hidden_group_size_x
      - .offset:         158
        .size:           2
        .value_kind:     hidden_group_size_y
      - .offset:         160
        .size:           2
        .value_kind:     hidden_group_size_z
      - .offset:         162
        .size:           2
        .value_kind:     hidden_remainder_x
      - .offset:         164
        .size:           2
        .value_kind:     hidden_remainder_y
      - .offset:         166
        .size:           2
        .value_kind:     hidden_remainder_z
      - .offset:         184
        .size:           8
        .value_kind:     hidden_global_offset_x
      - .offset:         192
        .size:           8
        .value_kind:     hidden_global_offset_y
      - .offset:         200
        .size:           8
        .value_kind:     hidden_global_offset_z
      - .offset:         208
        .size:           2
        .value_kind:     hidden_grid_dims
    .group_segment_fixed_size: 0
    .kernarg_segment_align: 8
    .kernarg_segment_size: 400
    .language:       OpenCL C
    .language_version:
      - 2
      - 0
    .max_flat_workgroup_size: 1024
    .name:           _Z9hypterm_2PdS_S_S_S_PKdS1_S1_S1_S1_S1_S1_S1_dddiii
    .private_segment_fixed_size: 0
    .sgpr_count:     27
    .sgpr_spill_count: 0
    .symbol:         _Z9hypterm_2PdS_S_S_S_PKdS1_S1_S1_S1_S1_S1_S1_dddiii.kd
    .uniform_work_group_size: 1
    .uses_dynamic_stack: false
    .vgpr_count:     63
    .vgpr_spill_count: 0
    .wavefront_size: 32
  - .args:
      - .address_space:  global
        .offset:         0
        .size:           8
        .value_kind:     global_buffer
      - .address_space:  global
        .offset:         8
        .size:           8
        .value_kind:     global_buffer
      - .address_space:  global
        .offset:         16
        .size:           8
        .value_kind:     global_buffer
      - .address_space:  global
        .offset:         24
        .size:           8
        .value_kind:     global_buffer
      - .address_space:  global
        .offset:         32
        .size:           8
        .value_kind:     global_buffer
      - .actual_access:  read_only
        .address_space:  global
        .offset:         40
        .size:           8
        .value_kind:     global_buffer
      - .actual_access:  read_only
        .address_space:  global
        .offset:         48
        .size:           8
        .value_kind:     global_buffer
      - .actual_access:  read_only
        .address_space:  global
        .offset:         56
        .size:           8
        .value_kind:     global_buffer
      - .actual_access:  read_only
        .address_space:  global
        .offset:         64
        .size:           8
        .value_kind:     global_buffer
      - .actual_access:  read_only
        .address_space:  global
        .offset:         72
        .size:           8
        .value_kind:     global_buffer
      - .actual_access:  read_only
        .address_space:  global
        .offset:         80
        .size:           8
        .value_kind:     global_buffer
      - .actual_access:  read_only
        .address_space:  global
        .offset:         88
        .size:           8
        .value_kind:     global_buffer
      - .actual_access:  read_only
        .address_space:  global
        .offset:         96
        .size:           8
        .value_kind:     global_buffer
      - .offset:         104
        .size:           8
        .value_kind:     by_value
      - .offset:         112
        .size:           8
        .value_kind:     by_value
      - .offset:         120
        .size:           8
        .value_kind:     by_value
      - .offset:         128
        .size:           4
        .value_kind:     by_value
      - .offset:         132
        .size:           4
        .value_kind:     by_value
      - .offset:         136
        .size:           4
        .value_kind:     by_value
      - .offset:         144
        .size:           4
        .value_kind:     hidden_block_count_x
      - .offset:         148
        .size:           4
        .value_kind:     hidden_block_count_y
      - .offset:         152
        .size:           4
        .value_kind:     hidden_block_count_z
      - .offset:         156
        .size:           2
        .value_kind:     hidden_group_size_x
      - .offset:         158
        .size:           2
        .value_kind:     hidden_group_size_y
      - .offset:         160
        .size:           2
        .value_kind:     hidden_group_size_z
      - .offset:         162
        .size:           2
        .value_kind:     hidden_remainder_x
      - .offset:         164
        .size:           2
        .value_kind:     hidden_remainder_y
      - .offset:         166
        .size:           2
        .value_kind:     hidden_remainder_z
      - .offset:         184
        .size:           8
        .value_kind:     hidden_global_offset_x
      - .offset:         192
        .size:           8
        .value_kind:     hidden_global_offset_y
      - .offset:         200
        .size:           8
        .value_kind:     hidden_global_offset_z
      - .offset:         208
        .size:           2
        .value_kind:     hidden_grid_dims
    .group_segment_fixed_size: 0
    .kernarg_segment_align: 8
    .kernarg_segment_size: 400
    .language:       OpenCL C
    .language_version:
      - 2
      - 0
    .max_flat_workgroup_size: 1024
    .name:           _Z9hypterm_3PdS_S_S_S_PKdS1_S1_S1_S1_S1_S1_S1_dddiii
    .private_segment_fixed_size: 0
    .sgpr_count:     26
    .sgpr_spill_count: 0
    .symbol:         _Z9hypterm_3PdS_S_S_S_PKdS1_S1_S1_S1_S1_S1_S1_dddiii.kd
    .uniform_work_group_size: 1
    .uses_dynamic_stack: false
    .vgpr_count:     63
    .vgpr_spill_count: 0
    .wavefront_size: 32
amdhsa.target:   amdgcn-amd-amdhsa--gfx1250
amdhsa.version:
  - 1
  - 2
...

	.end_amdgpu_metadata
